;; amdgpu-corpus repo=ROCm/rocFFT kind=compiled arch=gfx1100 opt=O3
	.text
	.amdgcn_target "amdgcn-amd-amdhsa--gfx1100"
	.amdhsa_code_object_version 6
	.protected	fft_rtc_fwd_len576_factors_16_6_6_wgs_96_tpt_96_halfLds_half_ip_CI_unitstride_sbrr_dirReg ; -- Begin function fft_rtc_fwd_len576_factors_16_6_6_wgs_96_tpt_96_halfLds_half_ip_CI_unitstride_sbrr_dirReg
	.globl	fft_rtc_fwd_len576_factors_16_6_6_wgs_96_tpt_96_halfLds_half_ip_CI_unitstride_sbrr_dirReg
	.p2align	8
	.type	fft_rtc_fwd_len576_factors_16_6_6_wgs_96_tpt_96_halfLds_half_ip_CI_unitstride_sbrr_dirReg,@function
fft_rtc_fwd_len576_factors_16_6_6_wgs_96_tpt_96_halfLds_half_ip_CI_unitstride_sbrr_dirReg: ; @fft_rtc_fwd_len576_factors_16_6_6_wgs_96_tpt_96_halfLds_half_ip_CI_unitstride_sbrr_dirReg
; %bb.0:
	s_clause 0x2
	s_load_b128 s[4:7], s[0:1], 0x0
	s_load_b64 s[8:9], s[0:1], 0x50
	s_load_b64 s[10:11], s[0:1], 0x18
	v_mul_u32_u24_e32 v1, 0x2ab, v0
	v_mov_b32_e32 v5, 0
	v_mov_b32_e32 v6, 0
	s_delay_alu instid0(VALU_DEP_3) | instskip(SKIP_1) | instid1(VALU_DEP_1)
	v_lshrrev_b32_e32 v2, 16, v1
	v_mov_b32_e32 v1, 0
	v_dual_mov_b32 v4, v1 :: v_dual_add_nc_u32 v3, s15, v2
	s_waitcnt lgkmcnt(0)
	v_cmp_lt_u64_e64 s2, s[6:7], 2
	s_delay_alu instid0(VALU_DEP_1)
	s_and_b32 vcc_lo, exec_lo, s2
	s_cbranch_vccnz .LBB0_8
; %bb.1:
	s_load_b64 s[2:3], s[0:1], 0x10
	v_mov_b32_e32 v5, 0
	s_add_u32 s12, s10, 8
	v_mov_b32_e32 v6, 0
	s_addc_u32 s13, s11, 0
	s_mov_b64 s[16:17], 1
	s_waitcnt lgkmcnt(0)
	s_add_u32 s14, s2, 8
	s_addc_u32 s15, s3, 0
.LBB0_2:                                ; =>This Inner Loop Header: Depth=1
	s_load_b64 s[18:19], s[14:15], 0x0
                                        ; implicit-def: $vgpr7_vgpr8
	s_mov_b32 s2, exec_lo
	s_waitcnt lgkmcnt(0)
	v_or_b32_e32 v2, s19, v4
	s_delay_alu instid0(VALU_DEP_1)
	v_cmpx_ne_u64_e32 0, v[1:2]
	s_xor_b32 s3, exec_lo, s2
	s_cbranch_execz .LBB0_4
; %bb.3:                                ;   in Loop: Header=BB0_2 Depth=1
	v_cvt_f32_u32_e32 v2, s18
	v_cvt_f32_u32_e32 v7, s19
	s_sub_u32 s2, 0, s18
	s_subb_u32 s20, 0, s19
	s_delay_alu instid0(VALU_DEP_1) | instskip(NEXT) | instid1(VALU_DEP_1)
	v_fmac_f32_e32 v2, 0x4f800000, v7
	v_rcp_f32_e32 v2, v2
	s_waitcnt_depctr 0xfff
	v_mul_f32_e32 v2, 0x5f7ffffc, v2
	s_delay_alu instid0(VALU_DEP_1) | instskip(NEXT) | instid1(VALU_DEP_1)
	v_mul_f32_e32 v7, 0x2f800000, v2
	v_trunc_f32_e32 v7, v7
	s_delay_alu instid0(VALU_DEP_1) | instskip(SKIP_1) | instid1(VALU_DEP_2)
	v_fmac_f32_e32 v2, 0xcf800000, v7
	v_cvt_u32_f32_e32 v7, v7
	v_cvt_u32_f32_e32 v2, v2
	s_delay_alu instid0(VALU_DEP_2) | instskip(NEXT) | instid1(VALU_DEP_2)
	v_mul_lo_u32 v8, s2, v7
	v_mul_hi_u32 v9, s2, v2
	v_mul_lo_u32 v10, s20, v2
	s_delay_alu instid0(VALU_DEP_2) | instskip(SKIP_1) | instid1(VALU_DEP_2)
	v_add_nc_u32_e32 v8, v9, v8
	v_mul_lo_u32 v9, s2, v2
	v_add_nc_u32_e32 v8, v8, v10
	s_delay_alu instid0(VALU_DEP_2) | instskip(NEXT) | instid1(VALU_DEP_2)
	v_mul_hi_u32 v10, v2, v9
	v_mul_lo_u32 v11, v2, v8
	v_mul_hi_u32 v12, v2, v8
	v_mul_hi_u32 v13, v7, v9
	v_mul_lo_u32 v9, v7, v9
	v_mul_hi_u32 v14, v7, v8
	v_mul_lo_u32 v8, v7, v8
	v_add_co_u32 v10, vcc_lo, v10, v11
	v_add_co_ci_u32_e32 v11, vcc_lo, 0, v12, vcc_lo
	s_delay_alu instid0(VALU_DEP_2) | instskip(NEXT) | instid1(VALU_DEP_2)
	v_add_co_u32 v9, vcc_lo, v10, v9
	v_add_co_ci_u32_e32 v9, vcc_lo, v11, v13, vcc_lo
	v_add_co_ci_u32_e32 v10, vcc_lo, 0, v14, vcc_lo
	s_delay_alu instid0(VALU_DEP_2) | instskip(NEXT) | instid1(VALU_DEP_2)
	v_add_co_u32 v8, vcc_lo, v9, v8
	v_add_co_ci_u32_e32 v9, vcc_lo, 0, v10, vcc_lo
	s_delay_alu instid0(VALU_DEP_2) | instskip(NEXT) | instid1(VALU_DEP_2)
	v_add_co_u32 v2, vcc_lo, v2, v8
	v_add_co_ci_u32_e32 v7, vcc_lo, v7, v9, vcc_lo
	s_delay_alu instid0(VALU_DEP_2) | instskip(SKIP_1) | instid1(VALU_DEP_3)
	v_mul_hi_u32 v8, s2, v2
	v_mul_lo_u32 v10, s20, v2
	v_mul_lo_u32 v9, s2, v7
	s_delay_alu instid0(VALU_DEP_1) | instskip(SKIP_1) | instid1(VALU_DEP_2)
	v_add_nc_u32_e32 v8, v8, v9
	v_mul_lo_u32 v9, s2, v2
	v_add_nc_u32_e32 v8, v8, v10
	s_delay_alu instid0(VALU_DEP_2) | instskip(NEXT) | instid1(VALU_DEP_2)
	v_mul_hi_u32 v10, v2, v9
	v_mul_lo_u32 v11, v2, v8
	v_mul_hi_u32 v12, v2, v8
	v_mul_hi_u32 v13, v7, v9
	v_mul_lo_u32 v9, v7, v9
	v_mul_hi_u32 v14, v7, v8
	v_mul_lo_u32 v8, v7, v8
	v_add_co_u32 v10, vcc_lo, v10, v11
	v_add_co_ci_u32_e32 v11, vcc_lo, 0, v12, vcc_lo
	s_delay_alu instid0(VALU_DEP_2) | instskip(NEXT) | instid1(VALU_DEP_2)
	v_add_co_u32 v9, vcc_lo, v10, v9
	v_add_co_ci_u32_e32 v9, vcc_lo, v11, v13, vcc_lo
	v_add_co_ci_u32_e32 v10, vcc_lo, 0, v14, vcc_lo
	s_delay_alu instid0(VALU_DEP_2) | instskip(NEXT) | instid1(VALU_DEP_2)
	v_add_co_u32 v8, vcc_lo, v9, v8
	v_add_co_ci_u32_e32 v9, vcc_lo, 0, v10, vcc_lo
	s_delay_alu instid0(VALU_DEP_2) | instskip(NEXT) | instid1(VALU_DEP_2)
	v_add_co_u32 v2, vcc_lo, v2, v8
	v_add_co_ci_u32_e32 v13, vcc_lo, v7, v9, vcc_lo
	s_delay_alu instid0(VALU_DEP_2) | instskip(SKIP_1) | instid1(VALU_DEP_3)
	v_mul_hi_u32 v14, v3, v2
	v_mad_u64_u32 v[9:10], null, v4, v2, 0
	v_mad_u64_u32 v[7:8], null, v3, v13, 0
	;; [unrolled: 1-line block ×3, first 2 shown]
	s_delay_alu instid0(VALU_DEP_2) | instskip(NEXT) | instid1(VALU_DEP_3)
	v_add_co_u32 v2, vcc_lo, v14, v7
	v_add_co_ci_u32_e32 v7, vcc_lo, 0, v8, vcc_lo
	s_delay_alu instid0(VALU_DEP_2) | instskip(NEXT) | instid1(VALU_DEP_2)
	v_add_co_u32 v2, vcc_lo, v2, v9
	v_add_co_ci_u32_e32 v2, vcc_lo, v7, v10, vcc_lo
	v_add_co_ci_u32_e32 v7, vcc_lo, 0, v12, vcc_lo
	s_delay_alu instid0(VALU_DEP_2) | instskip(NEXT) | instid1(VALU_DEP_2)
	v_add_co_u32 v2, vcc_lo, v2, v11
	v_add_co_ci_u32_e32 v9, vcc_lo, 0, v7, vcc_lo
	s_delay_alu instid0(VALU_DEP_2) | instskip(SKIP_1) | instid1(VALU_DEP_3)
	v_mul_lo_u32 v10, s19, v2
	v_mad_u64_u32 v[7:8], null, s18, v2, 0
	v_mul_lo_u32 v11, s18, v9
	s_delay_alu instid0(VALU_DEP_2) | instskip(NEXT) | instid1(VALU_DEP_2)
	v_sub_co_u32 v7, vcc_lo, v3, v7
	v_add3_u32 v8, v8, v11, v10
	s_delay_alu instid0(VALU_DEP_1) | instskip(NEXT) | instid1(VALU_DEP_1)
	v_sub_nc_u32_e32 v10, v4, v8
	v_subrev_co_ci_u32_e64 v10, s2, s19, v10, vcc_lo
	v_add_co_u32 v11, s2, v2, 2
	s_delay_alu instid0(VALU_DEP_1) | instskip(SKIP_3) | instid1(VALU_DEP_3)
	v_add_co_ci_u32_e64 v12, s2, 0, v9, s2
	v_sub_co_u32 v13, s2, v7, s18
	v_sub_co_ci_u32_e32 v8, vcc_lo, v4, v8, vcc_lo
	v_subrev_co_ci_u32_e64 v10, s2, 0, v10, s2
	v_cmp_le_u32_e32 vcc_lo, s18, v13
	s_delay_alu instid0(VALU_DEP_3) | instskip(SKIP_1) | instid1(VALU_DEP_4)
	v_cmp_eq_u32_e64 s2, s19, v8
	v_cndmask_b32_e64 v13, 0, -1, vcc_lo
	v_cmp_le_u32_e32 vcc_lo, s19, v10
	v_cndmask_b32_e64 v14, 0, -1, vcc_lo
	v_cmp_le_u32_e32 vcc_lo, s18, v7
	;; [unrolled: 2-line block ×3, first 2 shown]
	v_cndmask_b32_e64 v15, 0, -1, vcc_lo
	v_cmp_eq_u32_e32 vcc_lo, s19, v10
	s_delay_alu instid0(VALU_DEP_2) | instskip(SKIP_3) | instid1(VALU_DEP_3)
	v_cndmask_b32_e64 v7, v15, v7, s2
	v_cndmask_b32_e32 v10, v14, v13, vcc_lo
	v_add_co_u32 v13, vcc_lo, v2, 1
	v_add_co_ci_u32_e32 v14, vcc_lo, 0, v9, vcc_lo
	v_cmp_ne_u32_e32 vcc_lo, 0, v10
	s_delay_alu instid0(VALU_DEP_2) | instskip(NEXT) | instid1(VALU_DEP_4)
	v_cndmask_b32_e32 v8, v14, v12, vcc_lo
	v_cndmask_b32_e32 v10, v13, v11, vcc_lo
	v_cmp_ne_u32_e32 vcc_lo, 0, v7
	s_delay_alu instid0(VALU_DEP_2)
	v_dual_cndmask_b32 v7, v2, v10 :: v_dual_cndmask_b32 v8, v9, v8
.LBB0_4:                                ;   in Loop: Header=BB0_2 Depth=1
	s_and_not1_saveexec_b32 s2, s3
	s_cbranch_execz .LBB0_6
; %bb.5:                                ;   in Loop: Header=BB0_2 Depth=1
	v_cvt_f32_u32_e32 v2, s18
	s_sub_i32 s3, 0, s18
	s_delay_alu instid0(VALU_DEP_1) | instskip(SKIP_2) | instid1(VALU_DEP_1)
	v_rcp_iflag_f32_e32 v2, v2
	s_waitcnt_depctr 0xfff
	v_mul_f32_e32 v2, 0x4f7ffffe, v2
	v_cvt_u32_f32_e32 v2, v2
	s_delay_alu instid0(VALU_DEP_1) | instskip(NEXT) | instid1(VALU_DEP_1)
	v_mul_lo_u32 v7, s3, v2
	v_mul_hi_u32 v7, v2, v7
	s_delay_alu instid0(VALU_DEP_1) | instskip(NEXT) | instid1(VALU_DEP_1)
	v_add_nc_u32_e32 v2, v2, v7
	v_mul_hi_u32 v2, v3, v2
	s_delay_alu instid0(VALU_DEP_1) | instskip(SKIP_1) | instid1(VALU_DEP_2)
	v_mul_lo_u32 v7, v2, s18
	v_add_nc_u32_e32 v8, 1, v2
	v_sub_nc_u32_e32 v7, v3, v7
	s_delay_alu instid0(VALU_DEP_1) | instskip(SKIP_1) | instid1(VALU_DEP_2)
	v_subrev_nc_u32_e32 v9, s18, v7
	v_cmp_le_u32_e32 vcc_lo, s18, v7
	v_dual_cndmask_b32 v7, v7, v9 :: v_dual_cndmask_b32 v2, v2, v8
	s_delay_alu instid0(VALU_DEP_1) | instskip(NEXT) | instid1(VALU_DEP_2)
	v_cmp_le_u32_e32 vcc_lo, s18, v7
	v_add_nc_u32_e32 v8, 1, v2
	s_delay_alu instid0(VALU_DEP_1)
	v_dual_cndmask_b32 v7, v2, v8 :: v_dual_mov_b32 v8, v1
.LBB0_6:                                ;   in Loop: Header=BB0_2 Depth=1
	s_or_b32 exec_lo, exec_lo, s2
	s_load_b64 s[2:3], s[12:13], 0x0
	s_delay_alu instid0(VALU_DEP_1) | instskip(NEXT) | instid1(VALU_DEP_2)
	v_mul_lo_u32 v2, v8, s18
	v_mul_lo_u32 v11, v7, s19
	v_mad_u64_u32 v[9:10], null, v7, s18, 0
	s_add_u32 s16, s16, 1
	s_addc_u32 s17, s17, 0
	s_add_u32 s12, s12, 8
	s_addc_u32 s13, s13, 0
	;; [unrolled: 2-line block ×3, first 2 shown]
	s_delay_alu instid0(VALU_DEP_1) | instskip(SKIP_1) | instid1(VALU_DEP_2)
	v_add3_u32 v2, v10, v11, v2
	v_sub_co_u32 v9, vcc_lo, v3, v9
	v_sub_co_ci_u32_e32 v2, vcc_lo, v4, v2, vcc_lo
	s_waitcnt lgkmcnt(0)
	s_delay_alu instid0(VALU_DEP_2) | instskip(NEXT) | instid1(VALU_DEP_2)
	v_mul_lo_u32 v10, s3, v9
	v_mul_lo_u32 v4, s2, v2
	v_mad_u64_u32 v[2:3], null, s2, v9, v[5:6]
	v_cmp_ge_u64_e64 s2, s[16:17], s[6:7]
	s_delay_alu instid0(VALU_DEP_1) | instskip(NEXT) | instid1(VALU_DEP_2)
	s_and_b32 vcc_lo, exec_lo, s2
	v_add3_u32 v6, v10, v3, v4
	s_delay_alu instid0(VALU_DEP_3)
	v_mov_b32_e32 v5, v2
	s_cbranch_vccnz .LBB0_9
; %bb.7:                                ;   in Loop: Header=BB0_2 Depth=1
	v_dual_mov_b32 v3, v7 :: v_dual_mov_b32 v4, v8
	s_branch .LBB0_2
.LBB0_8:
	v_dual_mov_b32 v8, v4 :: v_dual_mov_b32 v7, v3
.LBB0_9:
	s_lshl_b64 s[2:3], s[6:7], 3
	v_mul_hi_u32 v3, 0x2aaaaab, v0
	s_add_u32 s2, s10, s2
	s_addc_u32 s3, s11, s3
	v_dual_mov_b32 v9, 0 :: v_dual_mov_b32 v4, 0
	s_load_b64 s[2:3], s[2:3], 0x0
	s_load_b64 s[0:1], s[0:1], 0x20
	v_dual_mov_b32 v11, 0 :: v_dual_mov_b32 v14, 0
	s_delay_alu instid0(VALU_DEP_3)
	v_mul_u32_u24_e32 v3, 0x60, v3
	v_dual_mov_b32 v21, 0 :: v_dual_mov_b32 v18, 0
	v_dual_mov_b32 v25, 0 :: v_dual_mov_b32 v10, 0
	v_dual_mov_b32 v15, 0 :: v_dual_mov_b32 v12, 0
	v_dual_mov_b32 v13, 0 :: v_dual_mov_b32 v16, 0
	v_dual_mov_b32 v19, 0 :: v_dual_mov_b32 v24, 0
	v_dual_mov_b32 v17, 0 :: v_dual_mov_b32 v20, 0
	v_sub_nc_u32_e32 v3, v0, v3
                                        ; implicit-def: $vgpr0
                                        ; implicit-def: $vgpr32
                                        ; implicit-def: $vgpr34
                                        ; implicit-def: $vgpr28
                                        ; implicit-def: $vgpr35
                                        ; implicit-def: $vgpr31
                                        ; implicit-def: $vgpr27
                                        ; implicit-def: $vgpr33
                                        ; implicit-def: $vgpr30
                                        ; implicit-def: $vgpr29
                                        ; implicit-def: $vgpr26
	s_waitcnt lgkmcnt(0)
	v_mul_lo_u32 v22, s2, v8
	v_mul_lo_u32 v23, s3, v7
	v_mad_u64_u32 v[1:2], null, s2, v7, v[5:6]
	v_cmp_gt_u64_e32 vcc_lo, s[0:1], v[7:8]
	v_mov_b32_e32 v6, 0
                                        ; implicit-def: $vgpr5
                                        ; implicit-def: $vgpr8
                                        ; implicit-def: $vgpr7
	s_delay_alu instid0(VALU_DEP_3)
	v_add3_u32 v2, v23, v2, v22
                                        ; implicit-def: $vgpr22
                                        ; implicit-def: $vgpr23
	s_and_saveexec_b32 s1, vcc_lo
	s_cbranch_execz .LBB0_13
; %bb.10:
	v_cmp_gt_u32_e64 s0, 36, v3
	v_dual_mov_b32 v6, 0 :: v_dual_mov_b32 v17, 0
	v_dual_mov_b32 v20, 0 :: v_dual_mov_b32 v19, 0
	v_dual_mov_b32 v24, 0 :: v_dual_mov_b32 v13, 0
	v_dual_mov_b32 v16, 0 :: v_dual_mov_b32 v15, 0
	v_dual_mov_b32 v12, 0 :: v_dual_mov_b32 v25, 0
	v_dual_mov_b32 v10, 0 :: v_dual_mov_b32 v21, 0
	v_dual_mov_b32 v18, 0 :: v_dual_mov_b32 v11, 0
	v_dual_mov_b32 v14, 0 :: v_dual_mov_b32 v9, 0
                                        ; implicit-def: $vgpr26
                                        ; implicit-def: $vgpr29
                                        ; implicit-def: $vgpr30
                                        ; implicit-def: $vgpr33
                                        ; implicit-def: $vgpr27
                                        ; implicit-def: $vgpr31
                                        ; implicit-def: $vgpr23
                                        ; implicit-def: $vgpr35
                                        ; implicit-def: $vgpr7
                                        ; implicit-def: $vgpr28
                                        ; implicit-def: $vgpr22
                                        ; implicit-def: $vgpr34
                                        ; implicit-def: $vgpr8
                                        ; implicit-def: $vgpr32
                                        ; implicit-def: $vgpr0
                                        ; implicit-def: $vgpr5
	s_and_saveexec_b32 s2, s0
	s_cbranch_execz .LBB0_12
; %bb.11:
	v_mov_b32_e32 v4, 0
	v_lshlrev_b64 v[5:6], 2, v[1:2]
	s_delay_alu instid0(VALU_DEP_2) | instskip(NEXT) | instid1(VALU_DEP_2)
	v_lshlrev_b64 v[7:8], 2, v[3:4]
	v_add_co_u32 v0, s0, s8, v5
	s_delay_alu instid0(VALU_DEP_1) | instskip(NEXT) | instid1(VALU_DEP_2)
	v_add_co_ci_u32_e64 v5, s0, s9, v6, s0
	v_add_co_u32 v4, s0, v0, v7
	s_delay_alu instid0(VALU_DEP_1)
	v_add_co_ci_u32_e64 v5, s0, v5, v8, s0
	s_clause 0xf
	global_load_b32 v11, v[4:5], off
	global_load_b32 v14, v[4:5], off offset:144
	global_load_b32 v15, v[4:5], off offset:288
	;; [unrolled: 1-line block ×15, first 2 shown]
	s_waitcnt vmcnt(15)
	v_lshrrev_b32_e32 v9, 16, v11
	s_waitcnt vmcnt(14)
	v_lshrrev_b32_e32 v21, 16, v14
	;; [unrolled: 2-line block ×16, first 2 shown]
.LBB0_12:
	s_or_b32 exec_lo, exec_lo, s2
	v_mov_b32_e32 v4, v3
.LBB0_13:
	s_or_b32 exec_lo, exec_lo, s1
	v_sub_f16_e32 v36, v15, v22
	v_sub_f16_e32 v34, v25, v34
	v_sub_f16_e32 v30, v17, v30
	v_sub_f16_e32 v8, v14, v8
	v_sub_f16_e32 v27, v16, v27
	v_fma_f16 v38, v15, 2.0, -v36
	v_fma_f16 v15, v25, 2.0, -v34
	v_sub_f16_e32 v25, v24, v33
	v_fma_f16 v17, v17, 2.0, -v30
	v_sub_f16_e32 v32, v21, v32
	;; [unrolled: 2-line block ×4, first 2 shown]
	v_sub_f16_e32 v28, v18, v28
	v_sub_f16_e32 v26, v6, v26
	;; [unrolled: 1-line block ×7, first 2 shown]
	v_fma_f16 v24, v24, 2.0, -v25
	v_fma_f16 v21, v21, 2.0, -v32
	;; [unrolled: 1-line block ×7, first 2 shown]
	v_sub_f16_e32 v25, v14, v33
	v_fma_f16 v33, v36, 2.0, -v17
	v_sub_f16_e32 v31, v8, v31
	v_add_f16_e32 v36, v32, v27
	v_sub_f16_e32 v40, v7, v29
	v_add_f16_e32 v26, v28, v26
	v_sub_f16_e32 v19, v15, v24
	v_add_f16_e32 v24, v34, v30
	v_sub_f16_e32 v30, v21, v35
	v_fma_f16 v8, v8, 2.0, -v31
	v_sub_f16_e32 v39, v13, v37
	v_sub_f16_e32 v20, v18, v20
	v_fma_f16 v41, v32, 2.0, -v36
	v_fma_f16 v7, v7, 2.0, -v40
	;; [unrolled: 1-line block ×7, first 2 shown]
	v_mul_f16_e32 v32, 0x39a8, v17
	v_fmamk_f16 v14, v7, 0xb9a8, v8
	v_fmamk_f16 v17, v28, 0xb9a8, v41
	v_fma_f16 v34, v34, 2.0, -v24
	v_mul_f16_e32 v37, 0x39a8, v24
	v_sub_f16_e32 v18, v6, v13
	v_sub_f16_e32 v35, v21, v27
	v_fmac_f16_e32 v14, 0xb9a8, v28
	v_fmac_f16_e32 v17, 0x39a8, v7
	v_fmamk_f16 v24, v40, 0x39a8, v31
	v_fmamk_f16 v27, v26, 0x39a8, v36
	v_sub_f16_e32 v7, v25, v20
	v_add_f16_e32 v13, v30, v39
	v_mul_f16_e32 v29, 0x39a8, v33
	v_mul_f16_e32 v33, 0x39a8, v34
	v_fma_f16 v20, v8, 2.0, -v14
	v_fmac_f16_e32 v24, 0xb9a8, v26
	v_fmac_f16_e32 v27, 0x39a8, v40
	v_fma_f16 v8, v25, 2.0, -v7
	v_fma_f16 v34, v30, 2.0, -v13
	;; [unrolled: 1-line block ×5, first 2 shown]
	v_mul_f16_e32 v28, 0x39a8, v8
	v_mul_f16_e32 v34, 0x39a8, v34
	;; [unrolled: 1-line block ×4, first 2 shown]
	v_cmp_gt_u32_e64 s0, 36, v3
	s_delay_alu instid0(VALU_DEP_1)
	s_and_saveexec_b32 s1, s0
	s_cbranch_execz .LBB0_15
; %bb.14:
	v_sub_f16_e32 v0, v11, v0
	v_fma_f16 v8, v12, 2.0, -v22
	v_fma_f16 v13, v38, 2.0, -v16
	;; [unrolled: 1-line block ×3, first 2 shown]
	v_lshl_add_u32 v47, v3, 5, 0
	v_sub_f16_e32 v7, v0, v23
	v_fma_f16 v11, v11, 2.0, -v0
	s_delay_alu instid0(VALU_DEP_2) | instskip(SKIP_1) | instid1(VALU_DEP_3)
	v_fma_f16 v0, v0, 2.0, -v7
	v_add_f16_e32 v12, v7, v32
	v_sub_f16_e32 v8, v11, v8
	s_delay_alu instid0(VALU_DEP_3) | instskip(NEXT) | instid1(VALU_DEP_3)
	v_sub_f16_e32 v38, v0, v29
	v_sub_f16_e32 v12, v12, v37
	s_delay_alu instid0(VALU_DEP_3) | instskip(SKIP_1) | instid1(VALU_DEP_4)
	v_sub_f16_e32 v39, v8, v19
	v_fma_f16 v11, v11, 2.0, -v8
	v_sub_f16_e32 v38, v38, v33
	s_delay_alu instid0(VALU_DEP_4) | instskip(NEXT) | instid1(VALU_DEP_4)
	v_fma_f16 v7, v7, 2.0, -v12
	v_fma_f16 v8, v8, 2.0, -v39
	s_delay_alu instid0(VALU_DEP_4)
	v_sub_f16_e32 v13, v11, v13
	v_fmamk_f16 v40, v24, 0x3b64, v12
	v_fma_f16 v0, v0, 2.0, -v38
	v_fmamk_f16 v42, v25, 0xb61f, v7
	v_sub_f16_e32 v44, v8, v28
	v_fma_f16 v11, v11, 2.0, -v13
	v_add_f16_e32 v41, v39, v31
	v_fmamk_f16 v46, v20, 0xbb64, v0
	v_fmamk_f16 v43, v14, 0x361f, v38
	v_fmac_f16_e32 v42, 0xbb64, v30
	v_sub_f16_e32 v44, v44, v34
	v_sub_f16_e32 v6, v11, v6
	v_fmac_f16_e32 v46, 0xb61f, v26
	v_fmac_f16_e32 v40, 0xb61f, v27
	v_sub_f16_e32 v41, v41, v36
	v_sub_f16_e32 v45, v13, v35
	v_fmac_f16_e32 v43, 0xbb64, v17
	v_fma_f16 v7, v7, 2.0, -v42
	v_fma_f16 v8, v8, 2.0, -v44
	;; [unrolled: 1-line block ×8, first 2 shown]
	v_pack_b32_f16 v7, v8, v7
	v_pack_b32_f16 v0, v11, v0
	;; [unrolled: 1-line block ×8, first 2 shown]
	ds_store_2addr_b32 v47, v0, v7 offset1:1
	ds_store_2addr_b32 v47, v8, v12 offset0:2 offset1:3
	ds_store_2addr_b32 v47, v6, v11 offset0:4 offset1:5
	;; [unrolled: 1-line block ×3, first 2 shown]
.LBB0_15:
	s_or_b32 exec_lo, exec_lo, s1
	v_lshl_add_u32 v0, v3, 1, 0
	s_waitcnt lgkmcnt(0)
	s_barrier
	buffer_gl0_inv
	ds_load_u16 v6, v0
	ds_load_u16 v13, v0 offset:192
	ds_load_u16 v12, v0 offset:384
	;; [unrolled: 1-line block ×5, first 2 shown]
	s_waitcnt lgkmcnt(0)
	s_barrier
	buffer_gl0_inv
	s_and_saveexec_b32 s1, s0
	s_cbranch_execz .LBB0_17
; %bb.16:
	v_sub_f16_e32 v5, v9, v5
	v_fma_f16 v10, v10, 2.0, -v23
	v_fma_f16 v15, v15, 2.0, -v19
	;; [unrolled: 1-line block ×3, first 2 shown]
	s_delay_alu instid0(VALU_DEP_4) | instskip(SKIP_1) | instid1(VALU_DEP_2)
	v_add_f16_e32 v22, v5, v22
	v_fma_f16 v9, v9, 2.0, -v5
	v_fma_f16 v5, v5, 2.0, -v22
	s_delay_alu instid0(VALU_DEP_2) | instskip(SKIP_1) | instid1(VALU_DEP_3)
	v_sub_f16_e32 v10, v9, v10
	v_add_f16_e32 v23, v22, v37
	v_sub_f16_e32 v19, v5, v33
	s_delay_alu instid0(VALU_DEP_3) | instskip(SKIP_1) | instid1(VALU_DEP_4)
	v_fma_f16 v9, v9, 2.0, -v10
	v_add_f16_e32 v16, v10, v16
	v_add_f16_e32 v23, v32, v23
	s_delay_alu instid0(VALU_DEP_4) | instskip(NEXT) | instid1(VALU_DEP_4)
	v_add_f16_e32 v19, v29, v19
	v_sub_f16_e32 v15, v9, v15
	s_delay_alu instid0(VALU_DEP_4) | instskip(NEXT) | instid1(VALU_DEP_4)
	v_fma_f16 v10, v10, 2.0, -v16
	v_fma_f16 v22, v22, 2.0, -v23
	v_fmamk_f16 v27, v27, 0x3b64, v23
	v_fma_f16 v5, v5, 2.0, -v19
	v_fma_f16 v9, v9, 2.0, -v15
	v_sub_f16_e32 v32, v10, v34
	v_fmamk_f16 v30, v30, 0xb61f, v22
	v_fmac_f16_e32 v27, 0x361f, v24
	v_fmamk_f16 v24, v26, 0xbb64, v5
	v_add_f16_e32 v29, v16, v36
	v_fmamk_f16 v17, v17, 0x361f, v19
	v_sub_f16_e32 v21, v9, v21
	v_add_f16_e32 v26, v28, v32
	v_fmac_f16_e32 v30, 0x3b64, v25
	v_fmac_f16_e32 v24, 0x361f, v20
	v_add_f16_e32 v18, v15, v18
	v_add_f16_e32 v29, v31, v29
	v_fmac_f16_e32 v17, 0x3b64, v14
	v_fma_f16 v9, v9, 2.0, -v21
	v_fma_f16 v10, v10, 2.0, -v26
	;; [unrolled: 1-line block ×8, first 2 shown]
	v_mad_u32_u24 v22, v3, 30, v0
	v_pack_b32_f16 v10, v10, v20
	v_pack_b32_f16 v5, v9, v5
	;; [unrolled: 1-line block ×8, first 2 shown]
	ds_store_2addr_b32 v22, v5, v10 offset1:1
	ds_store_2addr_b32 v22, v15, v14 offset0:2 offset1:3
	ds_store_2addr_b32 v22, v9, v16 offset0:4 offset1:5
	;; [unrolled: 1-line block ×3, first 2 shown]
.LBB0_17:
	s_or_b32 exec_lo, exec_lo, s1
	v_and_b32_e32 v5, 15, v3
	s_waitcnt lgkmcnt(0)
	s_barrier
	buffer_gl0_inv
	v_lshrrev_b32_e32 v10, 4, v3
	v_mul_u32_u24_e32 v9, 5, v5
	s_delay_alu instid0(VALU_DEP_2) | instskip(NEXT) | instid1(VALU_DEP_2)
	v_mul_u32_u24_e32 v10, 0x60, v10
	v_lshlrev_b32_e32 v9, 2, v9
	s_clause 0x1
	global_load_b128 v[14:17], v9, s[4:5]
	global_load_b32 v9, v9, s[4:5] offset:16
	ds_load_u16 v18, v0 offset:192
	ds_load_u16 v19, v0 offset:384
	;; [unrolled: 1-line block ×5, first 2 shown]
	v_or_b32_e32 v5, v10, v5
	ds_load_u16 v23, v0
	s_waitcnt vmcnt(0) lgkmcnt(0)
	s_barrier
	buffer_gl0_inv
	v_lshl_add_u32 v5, v5, 1, 0
	v_lshrrev_b32_e32 v25, 16, v16
	v_lshrrev_b32_e32 v27, 16, v9
	;; [unrolled: 1-line block ×5, first 2 shown]
	v_mul_f16_e32 v30, v20, v25
	v_mul_f16_e32 v25, v11, v25
	;; [unrolled: 1-line block ×10, first 2 shown]
	v_fmac_f16_e32 v25, v20, v16
	v_fmac_f16_e32 v27, v22, v9
	v_fma_f16 v12, v12, v15, -v29
	v_fma_f16 v11, v11, v16, -v30
	;; [unrolled: 1-line block ×5, first 2 shown]
	v_fmac_f16_e32 v10, v18, v14
	v_fmac_f16_e32 v24, v19, v15
	;; [unrolled: 1-line block ×3, first 2 shown]
	v_add_f16_e32 v22, v25, v27
	v_add_f16_e32 v14, v12, v8
	;; [unrolled: 1-line block ×6, first 2 shown]
	v_sub_f16_e32 v11, v11, v7
	v_fmac_f16_e32 v10, -0.5, v22
	v_add_f16_e32 v9, v6, v12
	v_sub_f16_e32 v15, v24, v26
	v_sub_f16_e32 v20, v25, v27
	v_fmac_f16_e32 v6, -0.5, v14
	v_fmac_f16_e32 v13, -0.5, v19
	v_add_f16_e32 v16, v23, v24
	v_fmac_f16_e32 v23, -0.5, v17
	v_fmamk_f16 v17, v11, 0xbaee, v10
	v_sub_f16_e32 v12, v12, v8
	v_add_f16_e32 v8, v9, v8
	v_fmamk_f16 v9, v15, 0x3aee, v6
	v_fmac_f16_e32 v6, 0xbaee, v15
	v_fmamk_f16 v15, v20, 0x3aee, v13
	v_fmac_f16_e32 v13, 0xbaee, v20
	v_fmac_f16_e32 v10, 0x3aee, v11
	v_mul_f16_e32 v11, 0x3aee, v17
	v_add_f16_e32 v7, v18, v7
	v_fmamk_f16 v18, v12, 0xbaee, v23
	v_fmac_f16_e32 v23, 0x3aee, v12
	v_mul_f16_e32 v12, -0.5, v13
	v_fmac_f16_e32 v11, 0.5, v15
	v_add_f16_e32 v19, v8, v7
	v_sub_f16_e32 v7, v8, v7
	v_add_f16_e32 v14, v16, v26
	v_fmac_f16_e32 v12, 0x3aee, v10
	v_add_f16_e32 v8, v9, v11
	v_add_f16_e32 v16, v21, v27
	v_mul_f16_e32 v21, -0.5, v10
	v_sub_f16_e32 v9, v9, v11
	v_add_f16_e32 v10, v6, v12
	v_sub_f16_e32 v6, v6, v12
	ds_store_b16 v5, v19
	ds_store_b16 v5, v8 offset:32
	ds_store_b16 v5, v10 offset:64
	;; [unrolled: 1-line block ×5, first 2 shown]
	s_waitcnt lgkmcnt(0)
	s_barrier
	buffer_gl0_inv
	ds_load_u16 v6, v0
	ds_load_u16 v7, v0 offset:192
	ds_load_u16 v10, v0 offset:384
	ds_load_u16 v8, v0 offset:576
	ds_load_u16 v11, v0 offset:768
	ds_load_u16 v9, v0 offset:960
	v_mul_f16_e32 v20, 0xbaee, v15
	v_fmac_f16_e32 v21, 0xbaee, v13
	v_add_f16_e32 v12, v14, v16
	v_sub_f16_e32 v14, v14, v16
	s_waitcnt lgkmcnt(0)
	v_fmac_f16_e32 v20, 0.5, v17
	v_add_f16_e32 v15, v23, v21
	v_sub_f16_e32 v17, v23, v21
	s_barrier
	buffer_gl0_inv
	v_add_f16_e32 v13, v18, v20
	v_sub_f16_e32 v16, v18, v20
	ds_store_b16 v5, v12
	ds_store_b16 v5, v13 offset:32
	ds_store_b16 v5, v15 offset:64
	;; [unrolled: 1-line block ×5, first 2 shown]
	s_waitcnt lgkmcnt(0)
	s_barrier
	buffer_gl0_inv
	s_and_saveexec_b32 s0, vcc_lo
	s_cbranch_execz .LBB0_19
; %bb.18:
	v_mul_u32_u24_e32 v3, 5, v3
	v_mov_b32_e32 v5, 0
	v_lshlrev_b64 v[1:2], 2, v[1:2]
	s_delay_alu instid0(VALU_DEP_3)
	v_lshlrev_b32_e32 v3, 2, v3
	s_clause 0x1
	global_load_b128 v[12:15], v3, s[4:5] offset:320
	global_load_b32 v16, v3, s[4:5] offset:336
	ds_load_u16 v17, v0 offset:384
	ds_load_u16 v18, v0 offset:768
	ds_load_u16 v19, v0 offset:960
	ds_load_u16 v20, v0 offset:576
	ds_load_u16 v21, v0 offset:192
	v_lshlrev_b64 v[3:4], 2, v[4:5]
	v_add_co_u32 v1, vcc_lo, s8, v1
	v_add_co_ci_u32_e32 v2, vcc_lo, s9, v2, vcc_lo
	ds_load_u16 v5, v0
	v_add_co_u32 v0, vcc_lo, v1, v3
	v_add_co_ci_u32_e32 v1, vcc_lo, v2, v4, vcc_lo
	s_waitcnt vmcnt(1)
	v_lshrrev_b32_e32 v22, 16, v14
	s_waitcnt vmcnt(0)
	v_lshrrev_b32_e32 v23, 16, v16
	v_lshrrev_b32_e32 v2, 16, v13
	;; [unrolled: 1-line block ×4, first 2 shown]
	s_waitcnt lgkmcnt(2)
	v_mul_f16_e32 v27, v20, v22
	v_mul_f16_e32 v28, v19, v23
	;; [unrolled: 1-line block ×8, first 2 shown]
	s_waitcnt lgkmcnt(1)
	v_mul_f16_e32 v26, v21, v4
	v_mul_f16_e32 v4, v7, v4
	v_fma_f16 v8, v8, v14, -v27
	v_fma_f16 v9, v9, v16, -v28
	v_fmac_f16_e32 v22, v14, v20
	v_fmac_f16_e32 v23, v16, v19
	v_fma_f16 v10, v10, v13, -v24
	v_fma_f16 v11, v11, v15, -v25
	v_fmac_f16_e32 v2, v13, v17
	v_fmac_f16_e32 v3, v15, v18
	v_fma_f16 v7, v7, v12, -v26
	v_fmac_f16_e32 v4, v12, v21
	v_add_f16_e32 v14, v8, v9
	v_add_f16_e32 v17, v22, v23
	v_sub_f16_e32 v12, v10, v11
	v_add_f16_e32 v13, v2, v3
	v_sub_f16_e32 v15, v22, v23
	v_sub_f16_e32 v16, v8, v9
	s_waitcnt lgkmcnt(0)
	v_add_f16_e32 v18, v2, v5
	v_add_f16_e32 v19, v4, v22
	;; [unrolled: 1-line block ×5, first 2 shown]
	v_fma_f16 v7, -0.5, v14, v7
	v_fma_f16 v4, -0.5, v17, v4
	v_sub_f16_e32 v2, v2, v3
	v_fma_f16 v5, -0.5, v13, v5
	v_add_f16_e32 v3, v3, v18
	v_add_f16_e32 v13, v19, v23
	;; [unrolled: 1-line block ×3, first 2 shown]
	v_fmamk_f16 v11, v15, 0xbaee, v7
	v_fmamk_f16 v14, v16, 0x3aee, v4
	v_fmac_f16_e32 v4, 0xbaee, v16
	v_fmac_f16_e32 v7, 0x3aee, v15
	v_fma_f16 v6, -0.5, v20, v6
	v_add_f16_e32 v8, v8, v9
	v_fmamk_f16 v9, v12, 0x3aee, v5
	v_fmac_f16_e32 v5, 0xbaee, v12
	v_sub_f16_e32 v12, v3, v13
	v_add_f16_e32 v3, v3, v13
	v_mul_f16_e32 v13, -0.5, v14
	v_mul_f16_e32 v16, 0xbaee, v7
	v_mul_f16_e32 v17, 0x3aee, v4
	v_fmamk_f16 v15, v2, 0xbaee, v6
	v_fmac_f16_e32 v6, 0x3aee, v2
	v_sub_f16_e32 v2, v10, v8
	v_add_f16_e32 v8, v10, v8
	v_mul_f16_e32 v10, -0.5, v11
	v_fmac_f16_e32 v13, 0xbaee, v11
	v_fmac_f16_e32 v16, 0.5, v4
	v_fmac_f16_e32 v17, 0.5, v7
	v_pack_b32_f16 v3, v8, v3
	v_fmac_f16_e32 v10, 0x3aee, v14
	v_sub_f16_e32 v4, v9, v13
	v_sub_f16_e32 v7, v5, v16
	v_add_f16_e32 v8, v9, v13
	v_add_f16_e32 v5, v5, v16
	;; [unrolled: 1-line block ×4, first 2 shown]
	v_sub_f16_e32 v6, v6, v17
	v_sub_f16_e32 v10, v15, v10
	v_pack_b32_f16 v2, v2, v12
	v_pack_b32_f16 v5, v9, v5
	;; [unrolled: 1-line block ×5, first 2 shown]
	s_clause 0x5
	global_store_b32 v[0:1], v3, off
	global_store_b32 v[0:1], v5, off offset:384
	global_store_b32 v[0:1], v8, off offset:768
	;; [unrolled: 1-line block ×5, first 2 shown]
.LBB0_19:
	s_nop 0
	s_sendmsg sendmsg(MSG_DEALLOC_VGPRS)
	s_endpgm
	.section	.rodata,"a",@progbits
	.p2align	6, 0x0
	.amdhsa_kernel fft_rtc_fwd_len576_factors_16_6_6_wgs_96_tpt_96_halfLds_half_ip_CI_unitstride_sbrr_dirReg
		.amdhsa_group_segment_fixed_size 0
		.amdhsa_private_segment_fixed_size 0
		.amdhsa_kernarg_size 88
		.amdhsa_user_sgpr_count 15
		.amdhsa_user_sgpr_dispatch_ptr 0
		.amdhsa_user_sgpr_queue_ptr 0
		.amdhsa_user_sgpr_kernarg_segment_ptr 1
		.amdhsa_user_sgpr_dispatch_id 0
		.amdhsa_user_sgpr_private_segment_size 0
		.amdhsa_wavefront_size32 1
		.amdhsa_uses_dynamic_stack 0
		.amdhsa_enable_private_segment 0
		.amdhsa_system_sgpr_workgroup_id_x 1
		.amdhsa_system_sgpr_workgroup_id_y 0
		.amdhsa_system_sgpr_workgroup_id_z 0
		.amdhsa_system_sgpr_workgroup_info 0
		.amdhsa_system_vgpr_workitem_id 0
		.amdhsa_next_free_vgpr 48
		.amdhsa_next_free_sgpr 21
		.amdhsa_reserve_vcc 1
		.amdhsa_float_round_mode_32 0
		.amdhsa_float_round_mode_16_64 0
		.amdhsa_float_denorm_mode_32 3
		.amdhsa_float_denorm_mode_16_64 3
		.amdhsa_dx10_clamp 1
		.amdhsa_ieee_mode 1
		.amdhsa_fp16_overflow 0
		.amdhsa_workgroup_processor_mode 1
		.amdhsa_memory_ordered 1
		.amdhsa_forward_progress 0
		.amdhsa_shared_vgpr_count 0
		.amdhsa_exception_fp_ieee_invalid_op 0
		.amdhsa_exception_fp_denorm_src 0
		.amdhsa_exception_fp_ieee_div_zero 0
		.amdhsa_exception_fp_ieee_overflow 0
		.amdhsa_exception_fp_ieee_underflow 0
		.amdhsa_exception_fp_ieee_inexact 0
		.amdhsa_exception_int_div_zero 0
	.end_amdhsa_kernel
	.text
.Lfunc_end0:
	.size	fft_rtc_fwd_len576_factors_16_6_6_wgs_96_tpt_96_halfLds_half_ip_CI_unitstride_sbrr_dirReg, .Lfunc_end0-fft_rtc_fwd_len576_factors_16_6_6_wgs_96_tpt_96_halfLds_half_ip_CI_unitstride_sbrr_dirReg
                                        ; -- End function
	.section	.AMDGPU.csdata,"",@progbits
; Kernel info:
; codeLenInByte = 4524
; NumSgprs: 23
; NumVgprs: 48
; ScratchSize: 0
; MemoryBound: 0
; FloatMode: 240
; IeeeMode: 1
; LDSByteSize: 0 bytes/workgroup (compile time only)
; SGPRBlocks: 2
; VGPRBlocks: 5
; NumSGPRsForWavesPerEU: 23
; NumVGPRsForWavesPerEU: 48
; Occupancy: 16
; WaveLimiterHint : 1
; COMPUTE_PGM_RSRC2:SCRATCH_EN: 0
; COMPUTE_PGM_RSRC2:USER_SGPR: 15
; COMPUTE_PGM_RSRC2:TRAP_HANDLER: 0
; COMPUTE_PGM_RSRC2:TGID_X_EN: 1
; COMPUTE_PGM_RSRC2:TGID_Y_EN: 0
; COMPUTE_PGM_RSRC2:TGID_Z_EN: 0
; COMPUTE_PGM_RSRC2:TIDIG_COMP_CNT: 0
	.text
	.p2alignl 7, 3214868480
	.fill 96, 4, 3214868480
	.type	__hip_cuid_b2d04aa9ff8a7bd0,@object ; @__hip_cuid_b2d04aa9ff8a7bd0
	.section	.bss,"aw",@nobits
	.globl	__hip_cuid_b2d04aa9ff8a7bd0
__hip_cuid_b2d04aa9ff8a7bd0:
	.byte	0                               ; 0x0
	.size	__hip_cuid_b2d04aa9ff8a7bd0, 1

	.ident	"AMD clang version 19.0.0git (https://github.com/RadeonOpenCompute/llvm-project roc-6.4.0 25133 c7fe45cf4b819c5991fe208aaa96edf142730f1d)"
	.section	".note.GNU-stack","",@progbits
	.addrsig
	.addrsig_sym __hip_cuid_b2d04aa9ff8a7bd0
	.amdgpu_metadata
---
amdhsa.kernels:
  - .args:
      - .actual_access:  read_only
        .address_space:  global
        .offset:         0
        .size:           8
        .value_kind:     global_buffer
      - .offset:         8
        .size:           8
        .value_kind:     by_value
      - .actual_access:  read_only
        .address_space:  global
        .offset:         16
        .size:           8
        .value_kind:     global_buffer
      - .actual_access:  read_only
        .address_space:  global
        .offset:         24
        .size:           8
        .value_kind:     global_buffer
      - .offset:         32
        .size:           8
        .value_kind:     by_value
      - .actual_access:  read_only
        .address_space:  global
        .offset:         40
        .size:           8
        .value_kind:     global_buffer
      - .actual_access:  read_only
        .address_space:  global
        .offset:         48
        .size:           8
        .value_kind:     global_buffer
      - .offset:         56
        .size:           4
        .value_kind:     by_value
      - .actual_access:  read_only
        .address_space:  global
        .offset:         64
        .size:           8
        .value_kind:     global_buffer
      - .actual_access:  read_only
        .address_space:  global
        .offset:         72
        .size:           8
        .value_kind:     global_buffer
      - .address_space:  global
        .offset:         80
        .size:           8
        .value_kind:     global_buffer
    .group_segment_fixed_size: 0
    .kernarg_segment_align: 8
    .kernarg_segment_size: 88
    .language:       OpenCL C
    .language_version:
      - 2
      - 0
    .max_flat_workgroup_size: 96
    .name:           fft_rtc_fwd_len576_factors_16_6_6_wgs_96_tpt_96_halfLds_half_ip_CI_unitstride_sbrr_dirReg
    .private_segment_fixed_size: 0
    .sgpr_count:     23
    .sgpr_spill_count: 0
    .symbol:         fft_rtc_fwd_len576_factors_16_6_6_wgs_96_tpt_96_halfLds_half_ip_CI_unitstride_sbrr_dirReg.kd
    .uniform_work_group_size: 1
    .uses_dynamic_stack: false
    .vgpr_count:     48
    .vgpr_spill_count: 0
    .wavefront_size: 32
    .workgroup_processor_mode: 1
amdhsa.target:   amdgcn-amd-amdhsa--gfx1100
amdhsa.version:
  - 1
  - 2
...

	.end_amdgpu_metadata
